;; amdgpu-corpus repo=ROCm/rocFFT kind=compiled arch=gfx906 opt=O3
	.text
	.amdgcn_target "amdgcn-amd-amdhsa--gfx906"
	.amdhsa_code_object_version 6
	.protected	fft_rtc_fwd_len121_factors_11_11_wgs_121_tpt_11_sp_op_CI_CI_sbcc_twdbase8_2step_dirReg ; -- Begin function fft_rtc_fwd_len121_factors_11_11_wgs_121_tpt_11_sp_op_CI_CI_sbcc_twdbase8_2step_dirReg
	.globl	fft_rtc_fwd_len121_factors_11_11_wgs_121_tpt_11_sp_op_CI_CI_sbcc_twdbase8_2step_dirReg
	.p2align	8
	.type	fft_rtc_fwd_len121_factors_11_11_wgs_121_tpt_11_sp_op_CI_CI_sbcc_twdbase8_2step_dirReg,@function
fft_rtc_fwd_len121_factors_11_11_wgs_121_tpt_11_sp_op_CI_CI_sbcc_twdbase8_2step_dirReg: ; @fft_rtc_fwd_len121_factors_11_11_wgs_121_tpt_11_sp_op_CI_CI_sbcc_twdbase8_2step_dirReg
; %bb.0:
	s_load_dwordx4 s[0:3], s[4:5], 0x18
	s_load_dwordx2 s[30:31], s[4:5], 0x28
	s_mov_b32 s7, 0
	s_mov_b64 s[24:25], 0
	s_waitcnt lgkmcnt(0)
	s_load_dwordx2 s[28:29], s[0:1], 0x8
	s_waitcnt lgkmcnt(0)
	s_add_u32 s8, s28, -1
	s_addc_u32 s9, s29, -1
	s_add_u32 s10, 0, 0x5d161400
	s_addc_u32 s11, 0, 0x54
	s_mul_hi_u32 s13, s10, -11
	s_add_i32 s11, s11, 0x1745d120
	s_sub_i32 s13, s13, s10
	s_mul_i32 s16, s11, -11
	s_mul_i32 s12, s10, -11
	s_add_i32 s13, s13, s16
	s_mul_hi_u32 s14, s11, s12
	s_mul_i32 s15, s11, s12
	s_mul_i32 s17, s10, s13
	s_mul_hi_u32 s12, s10, s12
	s_mul_hi_u32 s16, s10, s13
	s_add_u32 s12, s12, s17
	s_addc_u32 s16, 0, s16
	s_add_u32 s12, s12, s15
	s_mul_hi_u32 s17, s11, s13
	s_addc_u32 s12, s16, s14
	s_addc_u32 s14, s17, 0
	s_mul_i32 s13, s11, s13
	s_add_u32 s12, s12, s13
	v_mov_b32_e32 v1, s12
	s_addc_u32 s13, 0, s14
	v_add_co_u32_e32 v1, vcc, s10, v1
	s_cmp_lg_u64 vcc, 0
	s_addc_u32 s10, s11, s13
	v_readfirstlane_b32 s13, v1
	s_mul_i32 s12, s8, s10
	s_mul_hi_u32 s14, s8, s13
	s_mul_hi_u32 s11, s8, s10
	s_add_u32 s12, s14, s12
	s_addc_u32 s11, 0, s11
	s_mul_hi_u32 s15, s9, s13
	s_mul_i32 s13, s9, s13
	s_add_u32 s12, s12, s13
	s_mul_hi_u32 s14, s9, s10
	s_addc_u32 s11, s11, s15
	s_addc_u32 s12, s14, 0
	s_mul_i32 s10, s9, s10
	s_add_u32 s10, s11, s10
	s_addc_u32 s11, 0, s12
	s_add_u32 s12, s10, 1
	s_addc_u32 s13, s11, 0
	s_add_u32 s14, s10, 2
	s_mul_i32 s16, s11, 11
	s_mul_hi_u32 s17, s10, 11
	s_addc_u32 s15, s11, 0
	s_add_i32 s17, s17, s16
	s_mul_i32 s16, s10, 11
	v_mov_b32_e32 v1, s16
	v_sub_co_u32_e32 v1, vcc, s8, v1
	s_cmp_lg_u64 vcc, 0
	s_subb_u32 s8, s9, s17
	v_subrev_co_u32_e32 v2, vcc, 11, v1
	s_cmp_lg_u64 vcc, 0
	s_subb_u32 s9, s8, 0
	v_readfirstlane_b32 s16, v2
	s_cmp_gt_u32 s16, 10
	s_cselect_b32 s16, -1, 0
	s_cmp_eq_u32 s9, 0
	s_cselect_b32 s9, s16, -1
	s_cmp_lg_u32 s9, 0
	s_cselect_b32 s9, s14, s12
	s_cselect_b32 s12, s15, s13
	v_readfirstlane_b32 s13, v1
	s_cmp_gt_u32 s13, 10
	s_cselect_b32 s13, -1, 0
	s_cmp_eq_u32 s8, 0
	s_cselect_b32 s8, s13, -1
	s_cmp_lg_u32 s8, 0
	s_cselect_b32 s9, s9, s10
	s_cselect_b32 s8, s12, s11
	s_add_u32 s36, s9, 1
	s_addc_u32 s37, s8, 0
	v_mov_b32_e32 v1, s36
	v_mov_b32_e32 v2, s37
	v_cmp_lt_u64_e32 vcc, s[6:7], v[1:2]
	s_cbranch_vccnz .LBB0_2
; %bb.1:
	v_cvt_f32_u32_e32 v1, s36
	s_sub_i32 s8, 0, s36
	s_mov_b32 s25, s7
	v_rcp_iflag_f32_e32 v1, v1
	v_mul_f32_e32 v1, 0x4f7ffffe, v1
	v_cvt_u32_f32_e32 v1, v1
	v_readfirstlane_b32 s9, v1
	s_mul_i32 s8, s8, s9
	s_mul_hi_u32 s8, s9, s8
	s_add_i32 s9, s9, s8
	s_mul_hi_u32 s8, s6, s9
	s_mul_i32 s10, s8, s36
	s_sub_i32 s10, s6, s10
	s_add_i32 s9, s8, 1
	s_sub_i32 s11, s10, s36
	s_cmp_ge_u32 s10, s36
	s_cselect_b32 s8, s9, s8
	s_cselect_b32 s10, s11, s10
	s_add_i32 s9, s8, 1
	s_cmp_ge_u32 s10, s36
	s_cselect_b32 s24, s9, s8
.LBB0_2:
	s_load_dwordx4 s[12:15], s[4:5], 0x60
	s_load_dwordx4 s[20:23], s[2:3], 0x0
	;; [unrolled: 1-line block ×3, first 2 shown]
	s_load_dwordx2 s[26:27], s[4:5], 0x0
	s_load_dwordx4 s[16:19], s[4:5], 0x8
	s_mul_i32 s4, s24, s37
	s_mul_hi_u32 s5, s24, s36
	s_add_i32 s5, s5, s4
	s_mul_i32 s4, s24, s36
	s_sub_u32 s52, s6, s4
	s_subb_u32 s4, 0, s5
	s_mul_i32 s4, s4, 11
	s_mul_hi_u32 s33, s52, 11
	s_add_i32 s33, s33, s4
	s_mul_i32 s52, s52, 11
	s_waitcnt lgkmcnt(0)
	s_mul_i32 s4, s22, s33
	s_mul_hi_u32 s5, s22, s52
	s_add_i32 s4, s5, s4
	s_mul_i32 s5, s23, s52
	s_add_i32 s35, s4, s5
	s_mul_i32 s4, s10, s33
	s_mul_hi_u32 s5, s10, s52
	v_cmp_lt_u64_e64 s[38:39], s[18:19], 3
	s_add_i32 s4, s5, s4
	s_mul_i32 s5, s11, s52
	s_mul_i32 s34, s22, s52
	s_add_i32 s5, s4, s5
	s_mul_i32 s4, s10, s52
	s_and_b64 vcc, exec, s[38:39]
	s_cbranch_vccnz .LBB0_12
; %bb.3:
	s_add_u32 s38, s30, 16
	s_addc_u32 s39, s31, 0
	s_add_u32 s40, s2, 16
	s_addc_u32 s41, s3, 0
	s_add_u32 s42, s0, 16
	v_mov_b32_e32 v1, s18
	s_addc_u32 s43, s1, 0
	s_mov_b64 s[44:45], 2
	s_mov_b32 s46, 0
	v_mov_b32_e32 v2, s19
.LBB0_4:                                ; =>This Inner Loop Header: Depth=1
	s_load_dwordx2 s[48:49], s[42:43], 0x0
	s_waitcnt lgkmcnt(0)
	s_or_b64 s[0:1], s[24:25], s[48:49]
	s_mov_b32 s47, s1
	s_cmp_lg_u64 s[46:47], 0
	s_cbranch_scc0 .LBB0_9
; %bb.5:                                ;   in Loop: Header=BB0_4 Depth=1
	v_cvt_f32_u32_e32 v3, s48
	v_cvt_f32_u32_e32 v4, s49
	s_sub_u32 s0, 0, s48
	s_subb_u32 s1, 0, s49
	v_mac_f32_e32 v3, 0x4f800000, v4
	v_rcp_f32_e32 v3, v3
	v_mul_f32_e32 v3, 0x5f7ffffc, v3
	v_mul_f32_e32 v4, 0x2f800000, v3
	v_trunc_f32_e32 v4, v4
	v_mac_f32_e32 v3, 0xcf800000, v4
	v_cvt_u32_f32_e32 v4, v4
	v_cvt_u32_f32_e32 v3, v3
	v_readfirstlane_b32 s47, v4
	v_readfirstlane_b32 s50, v3
	s_mul_i32 s51, s0, s47
	s_mul_hi_u32 s54, s0, s50
	s_mul_i32 s53, s1, s50
	s_add_i32 s51, s54, s51
	s_mul_i32 s55, s0, s50
	s_add_i32 s51, s51, s53
	s_mul_hi_u32 s53, s50, s51
	s_mul_i32 s54, s50, s51
	s_mul_hi_u32 s50, s50, s55
	s_add_u32 s50, s50, s54
	s_addc_u32 s53, 0, s53
	s_mul_hi_u32 s56, s47, s55
	s_mul_i32 s55, s47, s55
	s_add_u32 s50, s50, s55
	s_mul_hi_u32 s54, s47, s51
	s_addc_u32 s50, s53, s56
	s_addc_u32 s53, s54, 0
	s_mul_i32 s51, s47, s51
	s_add_u32 s50, s50, s51
	s_addc_u32 s51, 0, s53
	v_add_co_u32_e32 v3, vcc, s50, v3
	s_cmp_lg_u64 vcc, 0
	s_addc_u32 s47, s47, s51
	v_readfirstlane_b32 s51, v3
	s_mul_i32 s50, s0, s47
	s_mul_hi_u32 s53, s0, s51
	s_add_i32 s50, s53, s50
	s_mul_i32 s1, s1, s51
	s_add_i32 s50, s50, s1
	s_mul_i32 s0, s0, s51
	s_mul_hi_u32 s53, s47, s0
	s_mul_i32 s54, s47, s0
	s_mul_i32 s56, s51, s50
	s_mul_hi_u32 s0, s51, s0
	s_mul_hi_u32 s55, s51, s50
	s_add_u32 s0, s0, s56
	s_addc_u32 s51, 0, s55
	s_add_u32 s0, s0, s54
	s_mul_hi_u32 s1, s47, s50
	s_addc_u32 s0, s51, s53
	s_addc_u32 s1, s1, 0
	s_mul_i32 s50, s47, s50
	s_add_u32 s0, s0, s50
	s_addc_u32 s1, 0, s1
	v_add_co_u32_e32 v3, vcc, s0, v3
	s_cmp_lg_u64 vcc, 0
	s_addc_u32 s0, s47, s1
	v_readfirstlane_b32 s50, v3
	s_mul_i32 s47, s24, s0
	s_mul_hi_u32 s51, s24, s50
	s_mul_hi_u32 s1, s24, s0
	s_add_u32 s47, s51, s47
	s_addc_u32 s1, 0, s1
	s_mul_hi_u32 s53, s25, s50
	s_mul_i32 s50, s25, s50
	s_add_u32 s47, s47, s50
	s_mul_hi_u32 s51, s25, s0
	s_addc_u32 s1, s1, s53
	s_addc_u32 s47, s51, 0
	s_mul_i32 s0, s25, s0
	s_add_u32 s50, s1, s0
	s_addc_u32 s47, 0, s47
	s_mul_i32 s0, s48, s47
	s_mul_hi_u32 s1, s48, s50
	s_add_i32 s0, s1, s0
	s_mul_i32 s1, s49, s50
	s_add_i32 s51, s0, s1
	s_mul_i32 s1, s48, s50
	v_mov_b32_e32 v3, s1
	s_sub_i32 s0, s25, s51
	v_sub_co_u32_e32 v3, vcc, s24, v3
	s_cmp_lg_u64 vcc, 0
	s_subb_u32 s53, s0, s49
	v_subrev_co_u32_e64 v4, s[0:1], s48, v3
	s_cmp_lg_u64 s[0:1], 0
	s_subb_u32 s0, s53, 0
	s_cmp_ge_u32 s0, s49
	v_readfirstlane_b32 s53, v4
	s_cselect_b32 s1, -1, 0
	s_cmp_ge_u32 s53, s48
	s_cselect_b32 s53, -1, 0
	s_cmp_eq_u32 s0, s49
	s_cselect_b32 s0, s53, s1
	s_add_u32 s1, s50, 1
	s_addc_u32 s53, s47, 0
	s_add_u32 s54, s50, 2
	s_addc_u32 s55, s47, 0
	s_cmp_lg_u32 s0, 0
	s_cselect_b32 s0, s54, s1
	s_cselect_b32 s1, s55, s53
	s_cmp_lg_u64 vcc, 0
	s_subb_u32 s51, s25, s51
	s_cmp_ge_u32 s51, s49
	v_readfirstlane_b32 s54, v3
	s_cselect_b32 s53, -1, 0
	s_cmp_ge_u32 s54, s48
	s_cselect_b32 s54, -1, 0
	s_cmp_eq_u32 s51, s49
	s_cselect_b32 s51, s54, s53
	s_cmp_lg_u32 s51, 0
	s_cselect_b32 s1, s1, s47
	s_cselect_b32 s0, s0, s50
	s_cbranch_execnz .LBB0_7
.LBB0_6:                                ;   in Loop: Header=BB0_4 Depth=1
	v_cvt_f32_u32_e32 v3, s48
	s_sub_i32 s0, 0, s48
	v_rcp_iflag_f32_e32 v3, v3
	v_mul_f32_e32 v3, 0x4f7ffffe, v3
	v_cvt_u32_f32_e32 v3, v3
	v_readfirstlane_b32 s1, v3
	s_mul_i32 s0, s0, s1
	s_mul_hi_u32 s0, s1, s0
	s_add_i32 s1, s1, s0
	s_mul_hi_u32 s0, s24, s1
	s_mul_i32 s47, s0, s48
	s_sub_i32 s47, s24, s47
	s_add_i32 s1, s0, 1
	s_sub_i32 s50, s47, s48
	s_cmp_ge_u32 s47, s48
	s_cselect_b32 s0, s1, s0
	s_cselect_b32 s47, s50, s47
	s_add_i32 s1, s0, 1
	s_cmp_ge_u32 s47, s48
	s_cselect_b32 s0, s1, s0
	s_mov_b32 s1, s46
.LBB0_7:                                ;   in Loop: Header=BB0_4 Depth=1
	s_mul_i32 s37, s48, s37
	s_mul_hi_u32 s47, s48, s36
	s_add_i32 s37, s47, s37
	s_mul_i32 s47, s49, s36
	s_add_i32 s37, s37, s47
	s_mul_i32 s47, s0, s49
	s_mul_hi_u32 s49, s0, s48
	s_load_dwordx2 s[50:51], s[40:41], 0x0
	s_add_i32 s47, s49, s47
	s_mul_i32 s49, s1, s48
	s_mul_i32 s36, s48, s36
	s_add_i32 s47, s47, s49
	s_mul_i32 s48, s0, s48
	s_sub_u32 s48, s24, s48
	s_subb_u32 s47, s25, s47
	s_waitcnt lgkmcnt(0)
	s_mul_i32 s24, s50, s47
	s_mul_hi_u32 s25, s50, s48
	s_add_i32 s49, s25, s24
	s_load_dwordx2 s[24:25], s[38:39], 0x0
	s_mul_i32 s51, s51, s48
	s_add_i32 s49, s49, s51
	s_mul_i32 s50, s50, s48
	s_add_u32 s34, s50, s34
	s_addc_u32 s35, s49, s35
	s_waitcnt lgkmcnt(0)
	s_mul_i32 s47, s24, s47
	s_mul_hi_u32 s49, s24, s48
	s_add_i32 s47, s49, s47
	s_mul_i32 s25, s25, s48
	s_add_i32 s47, s47, s25
	s_mul_i32 s24, s24, s48
	s_add_u32 s4, s24, s4
	s_addc_u32 s5, s47, s5
	s_add_u32 s44, s44, 1
	s_addc_u32 s45, s45, 0
	;; [unrolled: 2-line block ×4, first 2 shown]
	v_cmp_ge_u64_e32 vcc, s[44:45], v[1:2]
	s_add_u32 s42, s42, 8
	s_addc_u32 s43, s43, 0
	s_cbranch_vccnz .LBB0_10
; %bb.8:                                ;   in Loop: Header=BB0_4 Depth=1
	s_mov_b64 s[24:25], s[0:1]
	s_branch .LBB0_4
.LBB0_9:                                ;   in Loop: Header=BB0_4 Depth=1
                                        ; implicit-def: $sgpr0_sgpr1
	s_branch .LBB0_6
.LBB0_10:
	v_mov_b32_e32 v1, s36
	v_mov_b32_e32 v2, s37
	v_cmp_lt_u64_e32 vcc, s[6:7], v[1:2]
	s_mov_b64 s[24:25], 0
	s_cbranch_vccnz .LBB0_12
; %bb.11:
	v_cvt_f32_u32_e32 v1, s36
	s_sub_i32 s0, 0, s36
	v_rcp_iflag_f32_e32 v1, v1
	v_mul_f32_e32 v1, 0x4f7ffffe, v1
	v_cvt_u32_f32_e32 v1, v1
	v_readfirstlane_b32 s1, v1
	s_mul_i32 s0, s0, s1
	s_mul_hi_u32 s0, s1, s0
	s_add_i32 s1, s1, s0
	s_mul_hi_u32 s0, s6, s1
	s_mul_i32 s7, s0, s36
	s_sub_i32 s6, s6, s7
	s_add_i32 s1, s0, 1
	s_sub_i32 s7, s6, s36
	s_cmp_ge_u32 s6, s36
	s_cselect_b32 s0, s1, s0
	s_cselect_b32 s6, s7, s6
	s_add_i32 s1, s0, 1
	s_cmp_ge_u32 s6, s36
	s_cselect_b32 s24, s1, s0
.LBB0_12:
	v_mul_u32_u24_e32 v1, 0x1746, v0
	v_lshrrev_b32_e32 v27, 16, v1
	s_lshl_b64 s[36:37], s[18:19], 3
	v_mul_lo_u16_e32 v1, 11, v27
	s_add_u32 s18, s30, s36
	v_sub_u16_e32 v26, v0, v1
	s_addc_u32 s19, s31, s37
	v_mov_b32_e32 v1, s33
	v_add_co_u32_e32 v13, vcc, s52, v26
	v_addc_co_u32_e32 v14, vcc, 0, v1, vcc
	s_add_u32 s0, s52, 11
	v_mov_b32_e32 v1, s28
	s_addc_u32 s1, s33, 0
	v_mov_b32_e32 v2, s29
	v_cmp_le_u64_e32 vcc, s[0:1], v[1:2]
	v_cmp_gt_u64_e64 s[0:1], s[28:29], v[13:14]
                                        ; implicit-def: $vgpr4
                                        ; implicit-def: $vgpr23
                                        ; implicit-def: $vgpr19
                                        ; implicit-def: $vgpr15
                                        ; implicit-def: $vgpr10
                                        ; implicit-def: $vgpr6
                                        ; implicit-def: $vgpr25
                                        ; implicit-def: $vgpr21
                                        ; implicit-def: $vgpr17
                                        ; implicit-def: $vgpr12
                                        ; implicit-def: $vgpr8
	s_or_b64 s[6:7], vcc, s[0:1]
	s_and_saveexec_b64 s[0:1], s[6:7]
	s_cbranch_execz .LBB0_14
; %bb.13:
	s_add_u32 s2, s2, s36
	s_addc_u32 s3, s3, s37
	s_load_dwordx2 s[2:3], s[2:3], 0x0
	v_mad_u64_u32 v[1:2], s[28:29], s22, v26, 0
	v_mad_u64_u32 v[3:4], s[28:29], s20, v27, 0
	s_waitcnt lgkmcnt(0)
	s_mul_i32 s3, s3, s24
	s_mul_hi_u32 s25, s2, s24
	s_add_i32 s3, s25, s3
	s_mul_i32 s2, s2, s24
	v_mad_u64_u32 v[5:6], s[22:23], s23, v26, v[2:3]
	v_mov_b32_e32 v2, v4
	s_lshl_b64 s[2:3], s[2:3], 3
	v_mad_u64_u32 v[6:7], s[22:23], s21, v27, v[2:3]
	s_add_u32 s12, s12, s2
	s_addc_u32 s13, s13, s3
	s_lshl_b64 s[2:3], s[34:35], 3
	s_add_u32 s12, s12, s2
	s_addc_u32 s2, s13, s3
	v_add_u32_e32 v8, 11, v27
	v_mov_b32_e32 v2, v5
	v_mov_b32_e32 v4, v6
	;; [unrolled: 1-line block ×3, first 2 shown]
	v_mad_u64_u32 v[5:6], s[2:3], s20, v8, 0
	v_lshlrev_b64 v[1:2], 3, v[1:2]
	v_add_u32_e32 v9, 22, v27
	v_add_co_u32_e32 v44, vcc, s12, v1
	v_addc_co_u32_e32 v45, vcc, v7, v2, vcc
	v_lshlrev_b64 v[1:2], 3, v[3:4]
	v_mov_b32_e32 v3, v6
	v_mad_u64_u32 v[3:4], s[2:3], s21, v8, v[3:4]
	v_mad_u64_u32 v[7:8], s[2:3], s20, v9, 0
	v_mov_b32_e32 v6, v3
	v_lshlrev_b64 v[3:4], 3, v[5:6]
	v_mov_b32_e32 v5, v8
	v_mad_u64_u32 v[5:6], s[2:3], s21, v9, v[5:6]
	v_add_u32_e32 v6, 33, v27
	v_mad_u64_u32 v[9:10], s[2:3], s20, v6, 0
	v_add_co_u32_e32 v1, vcc, v44, v1
	v_addc_co_u32_e32 v2, vcc, v45, v2, vcc
	v_add_co_u32_e32 v16, vcc, v44, v3
	v_mov_b32_e32 v8, v5
	v_mov_b32_e32 v5, v10
	v_addc_co_u32_e32 v17, vcc, v45, v4, vcc
	v_lshlrev_b64 v[3:4], 3, v[7:8]
	v_mad_u64_u32 v[5:6], s[2:3], s21, v6, v[5:6]
	v_add_u32_e32 v8, 44, v27
	v_mad_u64_u32 v[6:7], s[2:3], s20, v8, 0
	v_add_co_u32_e32 v20, vcc, v44, v3
	v_mov_b32_e32 v10, v5
	v_mov_b32_e32 v5, v7
	v_addc_co_u32_e32 v21, vcc, v45, v4, vcc
	v_lshlrev_b64 v[3:4], 3, v[9:10]
	v_mad_u64_u32 v[7:8], s[2:3], s21, v8, v[5:6]
	v_add_u32_e32 v10, 55, v27
	v_mad_u64_u32 v[8:9], s[2:3], s20, v10, 0
	v_add_co_u32_e32 v24, vcc, v44, v3
	v_mov_b32_e32 v5, v9
	v_addc_co_u32_e32 v25, vcc, v45, v4, vcc
	v_lshlrev_b64 v[3:4], 3, v[6:7]
	v_mad_u64_u32 v[5:6], s[2:3], s21, v10, v[5:6]
	v_add_u32_e32 v10, 0x42, v27
	v_mad_u64_u32 v[6:7], s[2:3], s20, v10, 0
	v_add_co_u32_e32 v28, vcc, v44, v3
	v_mov_b32_e32 v9, v5
	v_mov_b32_e32 v5, v7
	v_addc_co_u32_e32 v29, vcc, v45, v4, vcc
	v_lshlrev_b64 v[3:4], 3, v[8:9]
	v_mad_u64_u32 v[7:8], s[2:3], s21, v10, v[5:6]
	v_add_u32_e32 v10, 0x4d, v27
	v_mad_u64_u32 v[8:9], s[2:3], s20, v10, 0
	v_add_co_u32_e32 v30, vcc, v44, v3
	;; [unrolled: 15-line block ×3, first 2 shown]
	v_mov_b32_e32 v5, v9
	v_addc_co_u32_e32 v35, vcc, v45, v4, vcc
	v_lshlrev_b64 v[3:4], 3, v[6:7]
	v_mad_u64_u32 v[5:6], s[2:3], s21, v10, v[5:6]
	v_add_co_u32_e32 v36, vcc, v44, v3
	v_mov_b32_e32 v9, v5
	v_add_u32_e32 v5, 0x6e, v27
	v_mad_u64_u32 v[38:39], s[2:3], s20, v5, 0
	v_addc_co_u32_e32 v37, vcc, v45, v4, vcc
	v_lshlrev_b64 v[3:4], 3, v[8:9]
	v_add_co_u32_e32 v40, vcc, v44, v3
	v_mov_b32_e32 v3, v39
	v_mad_u64_u32 v[42:43], s[2:3], s21, v5, v[3:4]
	v_addc_co_u32_e32 v41, vcc, v45, v4, vcc
	global_load_dwordx2 v[3:4], v[1:2], off
	global_load_dwordx2 v[22:23], v[16:17], off
	global_load_dwordx2 v[18:19], v[20:21], off
	global_load_dwordx2 v[14:15], v[24:25], off
	global_load_dwordx2 v[9:10], v[28:29], off
	global_load_dwordx2 v[5:6], v[30:31], off
	global_load_dwordx2 v[7:8], v[32:33], off
	global_load_dwordx2 v[11:12], v[34:35], off
	v_mov_b32_e32 v39, v42
	v_lshlrev_b64 v[1:2], 3, v[38:39]
	v_add_co_u32_e32 v1, vcc, v44, v1
	v_addc_co_u32_e32 v2, vcc, v45, v2, vcc
	global_load_dwordx2 v[16:17], v[36:37], off
	global_load_dwordx2 v[20:21], v[40:41], off
	;; [unrolled: 1-line block ×3, first 2 shown]
.LBB0_14:
	s_or_b64 exec, exec, s[0:1]
	s_waitcnt vmcnt(9)
	v_add_f32_e32 v1, v3, v22
	v_add_f32_e32 v2, v4, v23
	s_waitcnt vmcnt(8)
	v_add_f32_e32 v1, v1, v18
	v_add_f32_e32 v2, v2, v19
	;; [unrolled: 3-line block ×6, first 2 shown]
	s_waitcnt vmcnt(3)
	v_add_f32_e32 v1, v11, v1
	s_waitcnt vmcnt(0)
	v_add_f32_e32 v28, v22, v24
	v_add_f32_e32 v2, v12, v2
	;; [unrolled: 1-line block ×4, first 2 shown]
	v_sub_f32_e32 v14, v14, v16
	v_add_f32_e32 v34, v9, v11
	v_sub_f32_e32 v36, v9, v11
	v_add_f32_e32 v38, v5, v7
	v_sub_f32_e32 v40, v5, v7
	v_mul_f32_e32 v5, 0x3f575c64, v28
	v_mul_f32_e32 v7, 0x3ed4b147, v28
	;; [unrolled: 1-line block ×5, first 2 shown]
	v_add_f32_e32 v2, v17, v2
	v_add_f32_e32 v1, v20, v1
	;; [unrolled: 1-line block ×3, first 2 shown]
	v_sub_f32_e32 v22, v22, v24
	v_sub_f32_e32 v23, v23, v25
	v_add_f32_e32 v33, v15, v17
	v_sub_f32_e32 v15, v15, v17
	v_add_f32_e32 v35, v10, v12
	;; [unrolled: 2-line block ×3, first 2 shown]
	v_sub_f32_e32 v41, v6, v8
	v_mov_b32_e32 v6, v5
	v_mov_b32_e32 v8, v7
	;; [unrolled: 1-line block ×5, first 2 shown]
	v_add_f32_e32 v2, v21, v2
	v_add_f32_e32 v1, v24, v1
	;; [unrolled: 1-line block ×3, first 2 shown]
	v_sub_f32_e32 v30, v18, v20
	v_fmac_f32_e32 v6, 0x3f0a6770, v23
	v_fmac_f32_e32 v5, 0xbf0a6770, v23
	;; [unrolled: 1-line block ×10, first 2 shown]
	v_mul_f32_e32 v18, 0xbf0a6770, v22
	v_mul_f32_e32 v20, 0xbf68dda4, v22
	v_mul_f32_e32 v23, 0xbf7d64f0, v22
	v_mul_f32_e32 v42, 0xbf4178ce, v22
	v_mul_f32_e32 v22, 0xbe903f40, v22
	v_add_f32_e32 v2, v25, v2
	v_add_f32_e32 v25, v19, v21
	v_sub_f32_e32 v31, v19, v21
	s_mov_b32 s2, 0x3f575c64
	v_mov_b32_e32 v19, v18
	s_mov_b32 s3, 0x3ed4b147
	v_mov_b32_e32 v21, v20
	;; [unrolled: 2-line block ×5, first 2 shown]
	v_fmac_f32_e32 v19, 0x3f575c64, v29
	v_fma_f32 v18, v29, s2, -v18
	v_fmac_f32_e32 v21, 0x3ed4b147, v29
	v_fma_f32 v20, v29, s3, -v20
	;; [unrolled: 2-line block ×5, first 2 shown]
	v_add_f32_e32 v29, v3, v7
	v_mul_f32_e32 v7, 0x3ed4b147, v24
	v_add_f32_e32 v6, v3, v6
	v_add_f32_e32 v5, v3, v5
	;; [unrolled: 1-line block ×9, first 2 shown]
	v_mov_b32_e32 v3, v7
	v_mul_f32_e32 v9, 0xbe11bafb, v32
	v_fmac_f32_e32 v3, 0x3f68dda4, v31
	v_mov_b32_e32 v10, v9
	v_add_f32_e32 v3, v6, v3
	v_mul_f32_e32 v6, 0xbf68dda4, v30
	v_fmac_f32_e32 v10, 0x3f7d64f0, v15
	v_add_f32_e32 v19, v4, v19
	v_add_f32_e32 v18, v4, v18
	;; [unrolled: 1-line block ×10, first 2 shown]
	v_mov_b32_e32 v4, v6
	v_add_f32_e32 v3, v3, v10
	v_mul_f32_e32 v10, 0xbf7d64f0, v14
	v_fmac_f32_e32 v4, 0x3ed4b147, v25
	v_mov_b32_e32 v11, v10
	v_add_f32_e32 v4, v19, v4
	v_fmac_f32_e32 v11, 0xbe11bafb, v33
	v_add_f32_e32 v4, v4, v11
	v_mul_f32_e32 v11, 0xbf27a4f4, v34
	v_mov_b32_e32 v12, v11
	v_fmac_f32_e32 v12, 0x3f4178ce, v37
	v_add_f32_e32 v3, v3, v12
	v_mul_f32_e32 v12, 0xbf4178ce, v36
	v_mov_b32_e32 v16, v12
	v_fmac_f32_e32 v16, 0xbf27a4f4, v35
	v_add_f32_e32 v4, v4, v16
	v_mul_f32_e32 v16, 0xbf75a155, v38
	v_mov_b32_e32 v17, v16
	v_fmac_f32_e32 v7, 0xbf68dda4, v31
	v_fma_f32 v6, v25, s3, -v6
	v_fmac_f32_e32 v17, 0x3e903f40, v41
	v_add_f32_e32 v5, v5, v7
	v_add_f32_e32 v6, v18, v6
	v_fma_f32 v7, v33, s12, -v10
	v_add_f32_e32 v3, v3, v17
	v_mul_f32_e32 v17, 0xbe903f40, v40
	v_fmac_f32_e32 v9, 0xbf7d64f0, v15
	v_add_f32_e32 v6, v6, v7
	v_fma_f32 v7, v35, s13, -v12
	v_add_f32_e32 v5, v5, v9
	v_fmac_f32_e32 v11, 0xbf4178ce, v37
	v_add_f32_e32 v6, v6, v7
	v_fma_f32 v7, v39, s20, -v17
	v_mul_f32_e32 v9, 0xbf27a4f4, v24
	v_add_f32_e32 v5, v5, v11
	v_add_f32_e32 v6, v6, v7
	v_mov_b32_e32 v7, v9
	v_mul_f32_e32 v11, 0xbf75a155, v32
	v_fmac_f32_e32 v7, 0x3f4178ce, v31
	v_mov_b32_e32 v12, v11
	v_add_f32_e32 v7, v8, v7
	v_mul_f32_e32 v10, 0xbf4178ce, v30
	v_fmac_f32_e32 v12, 0xbe903f40, v15
	v_fmac_f32_e32 v16, 0xbe903f40, v41
	v_mov_b32_e32 v8, v10
	v_add_f32_e32 v7, v7, v12
	v_mul_f32_e32 v12, 0x3e903f40, v14
	v_add_f32_e32 v5, v5, v16
	v_fmac_f32_e32 v8, 0xbf27a4f4, v25
	v_mov_b32_e32 v16, v12
	v_add_f32_e32 v8, v21, v8
	v_fmac_f32_e32 v16, 0xbf75a155, v33
	v_add_f32_e32 v8, v8, v16
	v_mul_f32_e32 v16, 0xbe11bafb, v34
	v_mov_b32_e32 v19, v17
	v_mov_b32_e32 v17, v16
	v_fmac_f32_e32 v17, 0xbf7d64f0, v37
	v_add_f32_e32 v7, v7, v17
	v_mul_f32_e32 v17, 0x3f7d64f0, v36
	v_mov_b32_e32 v18, v17
	v_fmac_f32_e32 v18, 0xbe11bafb, v35
	v_fmac_f32_e32 v19, 0xbf75a155, v39
	v_add_f32_e32 v8, v8, v18
	v_mul_f32_e32 v18, 0x3f575c64, v38
	v_fmac_f32_e32 v9, 0xbf4178ce, v31
	v_add_f32_e32 v4, v4, v19
	v_mov_b32_e32 v19, v18
	v_add_f32_e32 v9, v29, v9
	v_fma_f32 v10, v25, s13, -v10
	v_fmac_f32_e32 v11, 0x3e903f40, v15
	v_fmac_f32_e32 v19, 0xbf0a6770, v41
	v_add_f32_e32 v10, v20, v10
	v_add_f32_e32 v9, v9, v11
	v_fma_f32 v11, v33, s20, -v12
	v_add_f32_e32 v7, v7, v19
	v_mul_f32_e32 v19, 0x3f0a6770, v40
	v_add_f32_e32 v10, v10, v11
	v_fmac_f32_e32 v16, 0x3f7d64f0, v37
	v_fma_f32 v11, v35, s12, -v17
	v_add_f32_e32 v9, v9, v16
	v_add_f32_e32 v10, v10, v11
	v_fmac_f32_e32 v18, 0x3f0a6770, v41
	v_fma_f32 v11, v39, s2, -v19
	v_mul_f32_e32 v16, 0xbf75a155, v24
	v_add_f32_e32 v9, v9, v18
	v_add_f32_e32 v10, v10, v11
	v_mov_b32_e32 v11, v16
	v_mul_f32_e32 v18, 0x3ed4b147, v32
	v_mov_b32_e32 v21, v19
	v_fmac_f32_e32 v11, 0xbe903f40, v31
	v_mov_b32_e32 v19, v18
	v_add_f32_e32 v11, v45, v11
	v_mul_f32_e32 v17, 0x3e903f40, v30
	v_fmac_f32_e32 v19, 0xbf68dda4, v15
	v_mov_b32_e32 v12, v17
	v_add_f32_e32 v11, v11, v19
	v_mul_f32_e32 v19, 0x3f68dda4, v14
	v_fmac_f32_e32 v12, 0xbf75a155, v25
	v_mov_b32_e32 v20, v19
	v_add_f32_e32 v12, v28, v12
	v_fmac_f32_e32 v20, 0x3ed4b147, v33
	v_fmac_f32_e32 v21, 0x3f575c64, v39
	v_add_f32_e32 v12, v12, v20
	v_mul_f32_e32 v20, 0x3f575c64, v34
	v_add_f32_e32 v8, v8, v21
	v_mov_b32_e32 v21, v20
	v_fmac_f32_e32 v21, 0x3f0a6770, v37
	v_add_f32_e32 v11, v11, v21
	v_mul_f32_e32 v21, 0xbf0a6770, v36
	v_mov_b32_e32 v22, v21
	v_fmac_f32_e32 v22, 0x3f575c64, v35
	v_add_f32_e32 v12, v12, v22
	v_mul_f32_e32 v22, 0xbf27a4f4, v38
	v_fmac_f32_e32 v16, 0x3e903f40, v31
	v_mov_b32_e32 v28, v22
	v_add_f32_e32 v16, v46, v16
	v_fma_f32 v17, v25, s20, -v17
	v_fmac_f32_e32 v18, 0x3f68dda4, v15
	v_fmac_f32_e32 v28, 0x3f4178ce, v41
	v_add_f32_e32 v17, v23, v17
	v_add_f32_e32 v16, v16, v18
	v_fma_f32 v18, v33, s3, -v19
	v_add_f32_e32 v11, v11, v28
	v_mul_f32_e32 v28, 0xbf4178ce, v40
	v_add_f32_e32 v17, v17, v18
	v_fmac_f32_e32 v20, 0xbf0a6770, v37
	v_fma_f32 v18, v35, s2, -v21
	v_add_f32_e32 v16, v16, v20
	v_add_f32_e32 v17, v17, v18
	v_fmac_f32_e32 v22, 0xbf4178ce, v41
	v_fma_f32 v18, v39, s13, -v28
	v_mul_f32_e32 v20, 0xbe11bafb, v24
	v_add_f32_e32 v16, v16, v22
	v_add_f32_e32 v17, v17, v18
	v_mov_b32_e32 v18, v20
	v_mul_f32_e32 v22, 0x3f575c64, v32
	v_fmac_f32_e32 v18, 0xbf7d64f0, v31
	v_mov_b32_e32 v23, v22
	v_add_f32_e32 v18, v47, v18
	v_mul_f32_e32 v21, 0x3f7d64f0, v30
	v_fmac_f32_e32 v23, 0x3f0a6770, v15
	v_mov_b32_e32 v19, v21
	v_add_f32_e32 v18, v18, v23
	v_mul_f32_e32 v23, 0xbf0a6770, v14
	v_mov_b32_e32 v29, v28
	v_fmac_f32_e32 v19, 0xbe11bafb, v25
	v_mov_b32_e32 v28, v23
	v_add_f32_e32 v19, v43, v19
	v_fmac_f32_e32 v28, 0x3f575c64, v33
	v_fmac_f32_e32 v29, 0xbf27a4f4, v39
	v_add_f32_e32 v19, v19, v28
	v_mul_f32_e32 v28, 0xbf75a155, v34
	v_add_f32_e32 v12, v12, v29
	v_mov_b32_e32 v29, v28
	v_fmac_f32_e32 v29, 0x3e903f40, v37
	v_add_f32_e32 v18, v18, v29
	v_mul_f32_e32 v29, 0xbe903f40, v36
	v_mov_b32_e32 v43, v29
	v_fmac_f32_e32 v43, 0xbf75a155, v35
	v_add_f32_e32 v19, v19, v43
	v_mul_f32_e32 v43, 0x3ed4b147, v38
	v_fmac_f32_e32 v20, 0x3f7d64f0, v31
	v_mov_b32_e32 v45, v43
	v_add_f32_e32 v20, v48, v20
	v_fma_f32 v21, v25, s12, -v21
	v_fmac_f32_e32 v22, 0xbf0a6770, v15
	v_fmac_f32_e32 v45, 0xbf68dda4, v41
	v_add_f32_e32 v21, v42, v21
	v_add_f32_e32 v20, v20, v22
	v_fma_f32 v22, v33, s2, -v23
	v_add_f32_e32 v18, v18, v45
	v_mul_f32_e32 v45, 0x3f68dda4, v40
	v_add_f32_e32 v21, v21, v22
	v_fma_f32 v22, v35, s20, -v29
	v_add_f32_e32 v21, v21, v22
	v_fma_f32 v22, v39, s3, -v45
	v_mul_f32_e32 v24, 0x3f575c64, v24
	v_fmac_f32_e32 v28, 0xbe903f40, v37
	v_add_f32_e32 v21, v21, v22
	v_mov_b32_e32 v22, v24
	v_mul_f32_e32 v29, 0xbf27a4f4, v32
	v_add_f32_e32 v20, v20, v28
	v_fmac_f32_e32 v22, 0xbf0a6770, v31
	v_mul_f32_e32 v28, 0x3f0a6770, v30
	v_mov_b32_e32 v30, v29
	v_add_f32_e32 v22, v49, v22
	v_mov_b32_e32 v23, v28
	v_fmac_f32_e32 v30, 0x3f4178ce, v15
	v_mul_f32_e32 v14, 0xbf4178ce, v14
	v_fmac_f32_e32 v23, 0x3f575c64, v25
	v_add_f32_e32 v22, v22, v30
	v_mov_b32_e32 v30, v14
	v_add_f32_e32 v23, v44, v23
	v_fmac_f32_e32 v30, 0xbf27a4f4, v33
	v_add_f32_e32 v23, v23, v30
	v_mul_f32_e32 v30, 0x3ed4b147, v34
	v_mov_b32_e32 v32, v30
	v_fmac_f32_e32 v32, 0xbf68dda4, v37
	v_add_f32_e32 v22, v22, v32
	v_mul_f32_e32 v32, 0x3f68dda4, v36
	v_mov_b32_e32 v34, v32
	v_fmac_f32_e32 v34, 0x3ed4b147, v35
	v_add_f32_e32 v23, v23, v34
	v_mul_f32_e32 v34, 0xbe11bafb, v38
	v_fmac_f32_e32 v24, 0x3f0a6770, v31
	v_mov_b32_e32 v36, v34
	v_add_f32_e32 v24, v50, v24
	v_fma_f32 v25, v25, s2, -v28
	v_fmac_f32_e32 v29, 0xbf4178ce, v15
	v_fmac_f32_e32 v36, 0x3f7d64f0, v41
	v_add_f32_e32 v25, v51, v25
	v_add_f32_e32 v15, v24, v29
	v_fma_f32 v14, v33, s13, -v14
	v_fmac_f32_e32 v30, 0x3f68dda4, v37
	s_load_dwordx2 s[0:1], s[18:19], 0x0
	v_add_f32_e32 v22, v22, v36
	v_mul_f32_e32 v36, 0xbf7d64f0, v40
	v_add_f32_e32 v14, v25, v14
	v_add_f32_e32 v15, v15, v30
	v_fma_f32 v24, v35, s3, -v32
	v_fmac_f32_e32 v34, 0xbf7d64f0, v41
	v_add_f32_e32 v14, v14, v24
	v_add_f32_e32 v24, v15, v34
	v_fma_f32 v15, v39, s12, -v36
	s_movk_i32 s18, 0x3c8
	v_mov_b32_e32 v46, v45
	v_mov_b32_e32 v38, v36
	v_add_f32_e32 v25, v14, v15
	v_mad_u32_u24 v15, v27, s18, 0
	v_fmac_f32_e32 v46, 0x3ed4b147, v39
	v_fmac_f32_e32 v43, 0x3f68dda4, v41
	;; [unrolled: 1-line block ×3, first 2 shown]
	v_lshl_add_u32 v14, v26, 3, v15
	v_add_f32_e32 v19, v19, v46
	v_add_f32_e32 v20, v20, v43
	;; [unrolled: 1-line block ×3, first 2 shown]
	ds_write2_b64 v14, v[1:2], v[3:4] offset1:11
	ds_write2_b64 v14, v[7:8], v[11:12] offset0:22 offset1:33
	ds_write2_b64 v14, v[18:19], v[22:23] offset0:44 offset1:55
	;; [unrolled: 1-line block ×4, first 2 shown]
	ds_write_b64 v14, v[5:6] offset:880
	s_waitcnt lgkmcnt(0)
	s_barrier
	s_and_saveexec_b64 s[18:19], s[6:7]
	s_cbranch_execz .LBB0_16
; %bb.15:
	v_mul_lo_u16_e32 v1, 24, v27
	v_mov_b32_e32 v2, 11
	v_mul_lo_u16_sdwa v1, v1, v2 dst_sel:DWORD dst_unused:UNUSED_PAD src0_sel:BYTE_1 src1_sel:DWORD
	v_sub_u16_e32 v1, v27, v1
	v_and_b32_e32 v18, 0xff, v1
	v_mul_u32_u24_e32 v1, 10, v18
	v_mul_i32_i24_e32 v16, 0xfffffc90, v27
	v_lshlrev_b32_e32 v17, 3, v26
	v_lshlrev_b32_e32 v14, 3, v1
	v_add3_u32 v27, v15, v16, v17
	global_load_dwordx4 v[5:8], v14, s[26:27] offset:32
	global_load_dwordx4 v[1:4], v14, s[26:27] offset:48
	v_add_u32_e32 v15, 0x1000, v27
	global_load_dwordx4 v[9:12], v14, s[26:27] offset:16
	v_add_u32_e32 v16, 0x1400, v27
	v_add_u32_e32 v17, 0x400, v27
	v_add_u32_e32 v20, 0x1c00, v27
	ds_read2_b32 v[23:24], v15 offset0:186 offset1:187
	ds_read2_b64 v[28:31], v16 offset0:86 offset1:207
	ds_read2_b64 v[32:35], v17 offset0:114 offset1:235
	;; [unrolled: 1-line block ×3, first 2 shown]
	v_add_u32_e32 v15, 0x6e, v18
	v_add_u32_e32 v16, 0x63, v18
	global_load_dwordx4 v[40:43], v14, s[26:27]
	global_load_dwordx4 v[44:47], v14, s[26:27] offset:64
	v_mul_lo_u32 v15, v13, v15
	v_add_u32_e32 v17, 0x58, v18
	v_mul_lo_u32 v16, v13, v16
	v_add_u32_e32 v20, 0x4d, v18
	v_mul_lo_u32 v17, v13, v17
	v_mov_b32_e32 v19, 3
	v_add_u32_e32 v21, 0x42, v18
	v_mul_lo_u32 v20, v13, v20
	v_add_u32_e32 v22, 55, v18
	v_mul_lo_u32 v21, v13, v21
	v_lshlrev_b32_sdwa v52, v19, v15 dst_sel:DWORD dst_unused:UNUSED_PAD src0_sel:DWORD src1_sel:BYTE_0
	v_lshlrev_b32_sdwa v15, v19, v15 dst_sel:DWORD dst_unused:UNUSED_PAD src0_sel:DWORD src1_sel:BYTE_1
	v_mul_lo_u32 v22, v13, v22
	global_load_dwordx2 v[48:49], v52, s[16:17]
	global_load_dwordx2 v[50:51], v15, s[16:17] offset:2048
	v_lshlrev_b32_sdwa v15, v19, v16 dst_sel:DWORD dst_unused:UNUSED_PAD src0_sel:DWORD src1_sel:BYTE_0
	v_lshlrev_b32_sdwa v16, v19, v16 dst_sel:DWORD dst_unused:UNUSED_PAD src0_sel:DWORD src1_sel:BYTE_1
	global_load_dwordx2 v[52:53], v15, s[16:17]
	global_load_dwordx2 v[54:55], v16, s[16:17] offset:2048
	v_lshlrev_b32_sdwa v15, v19, v17 dst_sel:DWORD dst_unused:UNUSED_PAD src0_sel:DWORD src1_sel:BYTE_0
	v_lshlrev_b32_sdwa v16, v19, v17 dst_sel:DWORD dst_unused:UNUSED_PAD src0_sel:DWORD src1_sel:BYTE_1
	global_load_dwordx2 v[56:57], v15, s[16:17]
	global_load_dwordx2 v[58:59], v16, s[16:17] offset:2048
	v_lshlrev_b32_sdwa v15, v19, v20 dst_sel:DWORD dst_unused:UNUSED_PAD src0_sel:DWORD src1_sel:BYTE_0
	v_lshlrev_b32_sdwa v16, v19, v20 dst_sel:DWORD dst_unused:UNUSED_PAD src0_sel:DWORD src1_sel:BYTE_1
	global_load_dwordx2 v[60:61], v15, s[16:17]
	global_load_dwordx2 v[62:63], v16, s[16:17] offset:2048
	v_lshlrev_b32_sdwa v15, v19, v21 dst_sel:DWORD dst_unused:UNUSED_PAD src0_sel:DWORD src1_sel:BYTE_0
	v_lshlrev_b32_sdwa v16, v19, v21 dst_sel:DWORD dst_unused:UNUSED_PAD src0_sel:DWORD src1_sel:BYTE_1
	v_add_u32_e32 v14, 44, v18
	v_add_u32_e32 v25, 33, v18
	global_load_dwordx2 v[64:65], v15, s[16:17]
	global_load_dwordx2 v[66:67], v16, s[16:17] offset:2048
	v_lshlrev_b32_sdwa v16, v19, v22 dst_sel:DWORD dst_unused:UNUSED_PAD src0_sel:DWORD src1_sel:BYTE_0
	v_add_u32_e32 v15, 22, v18
	v_mul_lo_u32 v14, v13, v14
	v_lshlrev_b32_sdwa v17, v19, v22 dst_sel:DWORD dst_unused:UNUSED_PAD src0_sel:DWORD src1_sel:BYTE_1
	global_load_dwordx2 v[68:69], v16, s[16:17]
	global_load_dwordx2 v[70:71], v17, s[16:17] offset:2048
	v_mul_lo_u32 v16, v13, v25
	v_mul_lo_u32 v15, v13, v15
	v_lshlrev_b32_sdwa v17, v19, v14 dst_sel:DWORD dst_unused:UNUSED_PAD src0_sel:DWORD src1_sel:BYTE_0
	v_lshlrev_b32_sdwa v14, v19, v14 dst_sel:DWORD dst_unused:UNUSED_PAD src0_sel:DWORD src1_sel:BYTE_1
	v_lshlrev_b32_sdwa v20, v19, v16 dst_sel:DWORD dst_unused:UNUSED_PAD src0_sel:DWORD src1_sel:BYTE_0
	global_load_dwordx2 v[72:73], v17, s[16:17]
	global_load_dwordx2 v[74:75], v14, s[16:17] offset:2048
	v_lshlrev_b32_sdwa v14, v19, v16 dst_sel:DWORD dst_unused:UNUSED_PAD src0_sel:DWORD src1_sel:BYTE_1
	v_lshlrev_b32_sdwa v21, v19, v15 dst_sel:DWORD dst_unused:UNUSED_PAD src0_sel:DWORD src1_sel:BYTE_0
	global_load_dwordx2 v[76:77], v20, s[16:17]
	global_load_dwordx2 v[78:79], v14, s[16:17] offset:2048
	v_lshlrev_b32_sdwa v20, v19, v15 dst_sel:DWORD dst_unused:UNUSED_PAD src0_sel:DWORD src1_sel:BYTE_1
	global_load_dwordx2 v[14:15], v21, s[16:17]
	global_load_dwordx2 v[16:17], v20, s[16:17] offset:2048
	ds_read_b64 v[80:81], v27 offset:3872
	s_mul_i32 s1, s1, s24
	s_waitcnt vmcnt(22) lgkmcnt(4)
	v_mul_f32_e32 v20, v6, v23
	v_mul_f32_e32 v6, v24, v6
	s_waitcnt lgkmcnt(3)
	v_mul_f32_e32 v21, v28, v8
	v_mul_f32_e32 v25, v29, v8
	s_waitcnt vmcnt(21)
	v_mul_f32_e32 v22, v30, v2
	v_mul_f32_e32 v2, v31, v2
	v_fmac_f32_e32 v20, v24, v5
	v_fma_f32 v8, v5, v23, -v6
	ds_read_b64 v[5:6], v27 offset:9680
	v_fmac_f32_e32 v21, v29, v7
	v_fma_f32 v7, v28, v7, -v25
	s_waitcnt vmcnt(20) lgkmcnt(1)
	v_mul_f32_e32 v23, v12, v80
	v_mul_f32_e32 v12, v12, v81
	;; [unrolled: 1-line block ×4, first 2 shown]
	v_fmac_f32_e32 v22, v31, v1
	v_fma_f32 v10, v30, v1, -v2
	v_mul_f32_e32 v1, v37, v4
	v_mul_f32_e32 v24, v36, v4
	v_fmac_f32_e32 v23, v11, v81
	v_fma_f32 v11, v11, v80, -v12
	v_fmac_f32_e32 v25, v9, v35
	v_fma_f32 v12, v9, v34, -v28
	v_fma_f32 v9, v36, v3, -v1
	s_waitcnt vmcnt(19)
	v_mul_f32_e32 v1, v43, v33
	v_fmac_f32_e32 v24, v37, v3
	v_fma_f32 v28, v42, v32, -v1
	ds_read2_b64 v[1:4], v27 offset1:121
	v_mul_f32_e32 v31, v43, v32
	v_fmac_f32_e32 v31, v42, v33
	s_waitcnt vmcnt(18) lgkmcnt(1)
	v_mul_f32_e32 v33, v5, v47
	v_fmac_f32_e32 v33, v6, v46
	s_waitcnt lgkmcnt(0)
	v_mul_f32_e32 v29, v41, v4
	v_mul_f32_e32 v34, v41, v3
	v_fma_f32 v32, v40, v3, -v29
	v_mul_f32_e32 v3, v6, v47
	v_fma_f32 v29, v5, v46, -v3
	s_waitcnt vmcnt(16)
	v_mul_f32_e32 v3, v49, v51
	v_fma_f32 v6, v48, v50, -v3
	v_mul_f32_e32 v3, v48, v51
	v_fmac_f32_e32 v3, v49, v50
	v_add_u32_e32 v50, 11, v18
	v_mul_lo_u32 v50, v13, v50
	v_fmac_f32_e32 v34, v40, v4
	s_waitcnt vmcnt(14)
	v_mul_f32_e32 v4, v53, v55
	v_mul_f32_e32 v5, v52, v55
	v_fma_f32 v48, v52, v54, -v4
	v_fmac_f32_e32 v5, v53, v54
	s_waitcnt vmcnt(12)
	v_mul_f32_e32 v4, v57, v59
	v_lshlrev_b32_sdwa v54, v19, v50 dst_sel:DWORD dst_unused:UNUSED_PAD src0_sel:DWORD src1_sel:BYTE_0
	v_mul_f32_e32 v30, v38, v45
	v_fma_f32 v46, v56, v58, -v4
	v_mul_f32_e32 v47, v56, v59
	s_waitcnt vmcnt(2)
	v_mul_f32_e32 v49, v77, v79
	v_fma_f32 v55, v76, v78, -v49
	v_lshlrev_b32_sdwa v56, v19, v50 dst_sel:DWORD dst_unused:UNUSED_PAD src0_sel:DWORD src1_sel:BYTE_1
	global_load_dwordx2 v[49:50], v54, s[16:17]
	global_load_dwordx2 v[51:52], v56, s[16:17] offset:2048
	s_waitcnt vmcnt(2)
	v_mul_f32_e32 v54, v15, v17
	v_fmac_f32_e32 v30, v39, v44
	v_fmac_f32_e32 v47, v57, v58
	v_mul_f32_e32 v4, v61, v63
	v_fma_f32 v57, v14, v16, -v54
	v_add_f32_e32 v54, v34, v33
	v_mul_f32_e32 v27, v39, v45
	v_fma_f32 v43, v60, v62, -v4
	v_mul_f32_e32 v4, v65, v67
	v_add_f32_e32 v45, v31, v30
	v_mul_f32_e32 v58, 0x3f575c64, v54
	v_fma_f32 v27, v38, v44, -v27
	v_fma_f32 v41, v64, v66, -v4
	v_mul_f32_e32 v35, 0x3ed4b147, v45
	v_mul_f32_e32 v4, v69, v71
	v_mul_f32_e32 v56, v14, v17
	v_sub_f32_e32 v59, v32, v29
	v_mov_b32_e32 v14, v58
	v_mul_f32_e32 v44, v60, v63
	v_fma_f32 v39, v68, v70, -v4
	v_sub_f32_e32 v36, v28, v27
	v_mov_b32_e32 v4, v35
	v_fmac_f32_e32 v14, 0x3f0a6770, v59
	v_add_f32_e32 v60, v25, v24
	v_fmac_f32_e32 v44, v61, v62
	v_fmac_f32_e32 v4, 0x3f68dda4, v36
	v_add_f32_e32 v14, v14, v2
	v_mul_f32_e32 v61, 0xbe11bafb, v60
	v_add_f32_e32 v4, v4, v14
	v_sub_f32_e32 v62, v12, v9
	v_mov_b32_e32 v14, v61
	v_add_f32_e32 v63, v23, v22
	v_mul_f32_e32 v42, v64, v67
	v_fmac_f32_e32 v14, 0x3f7d64f0, v62
	v_mul_f32_e32 v64, 0xbf27a4f4, v63
	v_fmac_f32_e32 v42, v65, v66
	v_mul_f32_e32 v38, v72, v75
	v_add_f32_e32 v4, v14, v4
	v_sub_f32_e32 v65, v11, v10
	v_mov_b32_e32 v14, v64
	v_add_f32_e32 v66, v20, v21
	v_mul_f32_e32 v40, v68, v71
	v_mul_f32_e32 v37, v73, v75
	v_fmac_f32_e32 v38, v73, v74
	v_fmac_f32_e32 v14, 0x3f4178ce, v65
	v_mul_f32_e32 v67, 0xbf75a155, v66
	v_sub_f32_e32 v73, v34, v33
	v_fmac_f32_e32 v40, v69, v70
	v_fma_f32 v37, v72, v74, -v37
	v_add_f32_e32 v4, v14, v4
	v_sub_f32_e32 v68, v8, v7
	v_mov_b32_e32 v14, v67
	v_sub_f32_e32 v70, v31, v30
	v_mul_f32_e32 v74, 0xbf0a6770, v73
	v_fmac_f32_e32 v56, v15, v16
	v_fmac_f32_e32 v14, 0x3e903f40, v68
	v_mul_f32_e32 v71, 0xbf68dda4, v70
	v_add_f32_e32 v72, v32, v29
	v_mov_b32_e32 v15, v74
	v_mul_f32_e32 v53, v76, v79
	v_add_f32_e32 v14, v14, v4
	v_add_f32_e32 v69, v28, v27
	v_mov_b32_e32 v4, v71
	v_fmac_f32_e32 v15, 0x3f575c64, v72
	v_sub_f32_e32 v76, v25, v24
	v_fmac_f32_e32 v53, v77, v78
	v_fmac_f32_e32 v4, 0x3ed4b147, v69
	v_add_f32_e32 v15, v15, v1
	v_mul_f32_e32 v77, 0xbf7d64f0, v76
	v_add_f32_e32 v4, v4, v15
	v_add_f32_e32 v75, v12, v9
	v_mov_b32_e32 v15, v77
	v_sub_f32_e32 v79, v23, v22
	v_fmac_f32_e32 v15, 0xbe11bafb, v75
	v_mul_f32_e32 v80, 0xbf4178ce, v79
	v_add_f32_e32 v4, v15, v4
	v_add_f32_e32 v78, v11, v10
	v_mov_b32_e32 v15, v80
	v_sub_f32_e32 v82, v20, v21
	v_fmac_f32_e32 v15, 0xbf27a4f4, v78
	v_mul_f32_e32 v83, 0xbe903f40, v82
	v_add_f32_e32 v4, v15, v4
	v_add_f32_e32 v81, v8, v7
	v_mov_b32_e32 v15, v83
	v_fmac_f32_e32 v15, 0xbf75a155, v81
	v_add_f32_e32 v15, v15, v4
	v_mul_f32_e32 v4, v15, v3
	v_mul_f32_e32 v85, 0x3ed4b147, v54
	;; [unrolled: 1-line block ×3, first 2 shown]
	v_fmac_f32_e32 v4, v14, v6
	v_mul_f32_e32 v84, 0xbf27a4f4, v45
	v_mov_b32_e32 v14, v85
	v_fma_f32 v3, v15, v6, -v16
	v_mov_b32_e32 v6, v84
	v_fmac_f32_e32 v14, 0x3f68dda4, v59
	v_fmac_f32_e32 v6, 0x3f4178ce, v36
	v_add_f32_e32 v14, v14, v2
	v_mul_f32_e32 v86, 0xbf75a155, v60
	v_add_f32_e32 v6, v6, v14
	v_mov_b32_e32 v14, v86
	v_fmac_f32_e32 v14, 0xbe903f40, v62
	v_mul_f32_e32 v87, 0xbe11bafb, v63
	v_add_f32_e32 v6, v14, v6
	v_mov_b32_e32 v14, v87
	v_fmac_f32_e32 v14, 0xbf7d64f0, v65
	v_mul_f32_e32 v88, 0x3f575c64, v66
	v_add_f32_e32 v6, v14, v6
	v_mov_b32_e32 v14, v88
	v_mul_f32_e32 v90, 0xbf68dda4, v73
	v_fmac_f32_e32 v14, 0xbf0a6770, v68
	v_mul_f32_e32 v89, 0xbf4178ce, v70
	v_mov_b32_e32 v15, v90
	v_add_f32_e32 v14, v14, v6
	v_mov_b32_e32 v6, v89
	v_fmac_f32_e32 v15, 0x3ed4b147, v72
	v_fmac_f32_e32 v6, 0xbf27a4f4, v69
	v_add_f32_e32 v15, v15, v1
	v_mul_f32_e32 v91, 0x3e903f40, v76
	v_add_f32_e32 v6, v6, v15
	v_mov_b32_e32 v15, v91
	v_fmac_f32_e32 v15, 0xbf75a155, v75
	v_mul_f32_e32 v92, 0x3f7d64f0, v79
	v_add_f32_e32 v6, v15, v6
	v_mov_b32_e32 v15, v92
	v_fmac_f32_e32 v15, 0xbe11bafb, v78
	;; [unrolled: 4-line block ×3, first 2 shown]
	v_add_f32_e32 v15, v15, v6
	v_mul_f32_e32 v16, v14, v5
	v_mul_f32_e32 v6, v15, v5
	;; [unrolled: 1-line block ×3, first 2 shown]
	v_fma_f32 v5, v15, v48, -v16
	v_fmac_f32_e32 v6, v14, v48
	v_mul_f32_e32 v48, 0xbf75a155, v45
	v_mov_b32_e32 v15, v94
	v_mov_b32_e32 v14, v48
	v_fmac_f32_e32 v15, 0x3f7d64f0, v59
	v_fmac_f32_e32 v14, 0xbe903f40, v36
	v_add_f32_e32 v15, v15, v2
	v_mul_f32_e32 v95, 0x3ed4b147, v60
	v_add_f32_e32 v14, v14, v15
	v_mov_b32_e32 v15, v95
	v_fmac_f32_e32 v15, 0xbf68dda4, v62
	v_mul_f32_e32 v96, 0x3f575c64, v63
	v_add_f32_e32 v14, v15, v14
	v_mov_b32_e32 v15, v96
	v_fmac_f32_e32 v15, 0x3f0a6770, v65
	;; [unrolled: 4-line block ×3, first 2 shown]
	v_mul_f32_e32 v99, 0xbf7d64f0, v73
	v_add_f32_e32 v16, v15, v14
	v_mul_f32_e32 v98, 0x3e903f40, v70
	v_mov_b32_e32 v15, v99
	v_mov_b32_e32 v14, v98
	v_fmac_f32_e32 v15, 0xbe11bafb, v72
	v_fmac_f32_e32 v14, 0xbf75a155, v69
	v_add_f32_e32 v15, v15, v1
	v_mul_f32_e32 v100, 0x3f68dda4, v76
	v_add_f32_e32 v14, v14, v15
	v_mov_b32_e32 v15, v100
	v_fmac_f32_e32 v15, 0x3ed4b147, v75
	v_mul_f32_e32 v101, 0xbf0a6770, v79
	v_add_f32_e32 v14, v15, v14
	v_mov_b32_e32 v15, v101
	v_fmac_f32_e32 v15, 0x3f575c64, v78
	;; [unrolled: 4-line block ×3, first 2 shown]
	v_add_f32_e32 v14, v15, v14
	v_mul_f32_e32 v17, v16, v47
	v_mul_f32_e32 v15, v14, v47
	;; [unrolled: 1-line block ×3, first 2 shown]
	v_fma_f32 v14, v14, v46, -v17
	v_fmac_f32_e32 v15, v16, v46
	v_mul_f32_e32 v46, 0xbe11bafb, v45
	v_mov_b32_e32 v17, v47
	v_mov_b32_e32 v16, v46
	v_fmac_f32_e32 v17, 0x3f4178ce, v59
	v_fmac_f32_e32 v16, 0xbf7d64f0, v36
	v_add_f32_e32 v17, v17, v2
	v_mul_f32_e32 v103, 0x3f575c64, v60
	v_add_f32_e32 v16, v16, v17
	v_mov_b32_e32 v17, v103
	v_fmac_f32_e32 v17, 0x3f0a6770, v62
	v_mul_f32_e32 v104, 0xbf75a155, v63
	v_add_f32_e32 v16, v17, v16
	v_mov_b32_e32 v17, v104
	v_fmac_f32_e32 v17, 0x3e903f40, v65
	;; [unrolled: 4-line block ×3, first 2 shown]
	v_mul_f32_e32 v108, 0xbf4178ce, v73
	v_add_f32_e32 v106, v17, v16
	v_mul_f32_e32 v107, 0x3f7d64f0, v70
	v_mov_b32_e32 v17, v108
	v_mov_b32_e32 v16, v107
	v_fmac_f32_e32 v17, 0xbf27a4f4, v72
	v_fmac_f32_e32 v16, 0xbe11bafb, v69
	v_add_f32_e32 v17, v17, v1
	v_mul_f32_e32 v109, 0xbf0a6770, v76
	v_add_f32_e32 v16, v16, v17
	v_mov_b32_e32 v17, v109
	v_fmac_f32_e32 v17, 0x3f575c64, v75
	v_mul_f32_e32 v110, 0xbe903f40, v79
	v_add_f32_e32 v16, v17, v16
	v_mov_b32_e32 v17, v110
	v_fmac_f32_e32 v17, 0xbf75a155, v78
	;; [unrolled: 4-line block ×3, first 2 shown]
	v_add_f32_e32 v16, v17, v16
	v_mul_f32_e32 v112, v106, v44
	v_mul_f32_e32 v17, v16, v44
	;; [unrolled: 1-line block ×4, first 2 shown]
	v_mov_b32_e32 v54, v45
	v_fma_f32 v16, v16, v43, -v112
	v_fmac_f32_e32 v17, v106, v43
	v_mov_b32_e32 v43, v44
	v_fmac_f32_e32 v54, 0x3e903f40, v59
	v_fmac_f32_e32 v43, 0xbf0a6770, v36
	v_add_f32_e32 v54, v54, v2
	v_add_f32_e32 v43, v43, v54
	v_mul_f32_e32 v54, 0xbf27a4f4, v60
	v_mov_b32_e32 v60, v54
	v_fmac_f32_e32 v60, 0x3f4178ce, v62
	v_add_f32_e32 v43, v60, v43
	v_mul_f32_e32 v60, 0x3ed4b147, v63
	v_mov_b32_e32 v63, v60
	v_fmac_f32_e32 v63, 0xbf68dda4, v65
	v_add_f32_e32 v43, v63, v43
	v_mul_f32_e32 v63, 0xbe11bafb, v66
	v_mov_b32_e32 v66, v63
	v_mul_f32_e32 v73, 0xbe903f40, v73
	v_fmac_f32_e32 v66, 0x3f7d64f0, v68
	v_mul_f32_e32 v70, 0x3f0a6770, v70
	v_mov_b32_e32 v106, v73
	v_add_f32_e32 v66, v66, v43
	v_mov_b32_e32 v43, v70
	v_fmac_f32_e32 v106, 0xbf75a155, v72
	v_fmac_f32_e32 v43, 0x3f575c64, v69
	v_add_f32_e32 v106, v106, v1
	v_mul_f32_e32 v76, 0xbf4178ce, v76
	v_add_f32_e32 v43, v43, v106
	v_mov_b32_e32 v106, v76
	v_fmac_f32_e32 v106, 0xbf27a4f4, v75
	v_mul_f32_e32 v79, 0x3f68dda4, v79
	v_add_f32_e32 v43, v106, v43
	v_mov_b32_e32 v106, v79
	v_fmac_f32_e32 v106, 0x3ed4b147, v78
	;; [unrolled: 4-line block ×3, first 2 shown]
	v_add_f32_e32 v106, v106, v43
	v_mul_f32_e32 v112, v66, v42
	v_mul_f32_e32 v43, v106, v42
	v_fmac_f32_e32 v45, 0xbe903f40, v59
	v_fma_f32 v42, v106, v41, -v112
	v_fmac_f32_e32 v43, v66, v41
	v_fmac_f32_e32 v44, 0x3f0a6770, v36
	v_add_f32_e32 v41, v45, v2
	v_add_f32_e32 v41, v44, v41
	v_fmac_f32_e32 v54, 0xbf4178ce, v62
	v_add_f32_e32 v41, v54, v41
	v_fmac_f32_e32 v60, 0x3f68dda4, v65
	;; [unrolled: 2-line block ×3, first 2 shown]
	v_fma_f32 v45, v72, s20, -v73
	v_add_f32_e32 v44, v63, v41
	v_fma_f32 v41, v69, s2, -v70
	v_add_f32_e32 v45, v45, v1
	v_add_f32_e32 v41, v41, v45
	v_fma_f32 v45, v75, s13, -v76
	v_add_f32_e32 v41, v45, v41
	v_fma_f32 v45, v78, s3, -v79
	;; [unrolled: 2-line block ×3, first 2 shown]
	v_add_f32_e32 v45, v45, v41
	v_mul_f32_e32 v54, v44, v40
	v_mul_f32_e32 v41, v45, v40
	v_fmac_f32_e32 v47, 0xbf4178ce, v59
	v_fma_f32 v40, v45, v39, -v54
	v_fmac_f32_e32 v41, v44, v39
	v_fmac_f32_e32 v46, 0x3f7d64f0, v36
	v_add_f32_e32 v39, v47, v2
	v_add_f32_e32 v39, v46, v39
	v_fmac_f32_e32 v103, 0xbf0a6770, v62
	v_add_f32_e32 v39, v103, v39
	v_fmac_f32_e32 v104, 0xbe903f40, v65
	;; [unrolled: 2-line block ×3, first 2 shown]
	v_fma_f32 v45, v72, s13, -v108
	v_add_f32_e32 v44, v105, v39
	v_fma_f32 v39, v69, s12, -v107
	v_add_f32_e32 v45, v45, v1
	v_add_f32_e32 v39, v39, v45
	v_fma_f32 v45, v75, s2, -v109
	v_mul_lo_u32 v13, v13, v18
	v_add_f32_e32 v39, v45, v39
	v_fma_f32 v45, v78, s20, -v110
	v_add_f32_e32 v39, v45, v39
	v_fma_f32 v45, v81, s3, -v111
	v_add_f32_e32 v45, v45, v39
	v_mul_f32_e32 v46, v44, v38
	v_mul_f32_e32 v39, v45, v38
	v_lshlrev_b32_sdwa v54, v19, v13 dst_sel:DWORD dst_unused:UNUSED_PAD src0_sel:DWORD src1_sel:BYTE_0
	v_fma_f32 v38, v45, v37, -v46
	v_fmac_f32_e32 v39, v44, v37
	v_lshlrev_b32_sdwa v13, v19, v13 dst_sel:DWORD dst_unused:UNUSED_PAD src0_sel:DWORD src1_sel:BYTE_1
	global_load_dwordx2 v[44:45], v54, s[16:17]
	global_load_dwordx2 v[46:47], v13, s[16:17] offset:2048
	v_fmac_f32_e32 v94, 0xbf7d64f0, v59
	v_fmac_f32_e32 v48, 0x3e903f40, v36
	v_add_f32_e32 v37, v94, v2
	v_fma_f32 v13, v72, s12, -v99
	v_add_f32_e32 v37, v48, v37
	v_fma_f32 v48, v69, s20, -v98
	v_add_f32_e32 v13, v13, v1
	v_add_f32_e32 v13, v48, v13
	v_fma_f32 v19, v75, s3, -v100
	v_fmac_f32_e32 v95, 0x3f68dda4, v62
	v_add_f32_e32 v13, v19, v13
	v_fma_f32 v19, v78, s2, -v101
	v_add_f32_e32 v37, v95, v37
	v_fmac_f32_e32 v96, 0xbf0a6770, v65
	v_add_f32_e32 v13, v19, v13
	v_fma_f32 v19, v81, s13, -v102
	v_add_f32_e32 v37, v96, v37
	v_fmac_f32_e32 v97, 0xbf4178ce, v68
	v_add_f32_e32 v13, v19, v13
	v_add_f32_e32 v37, v97, v37
	v_mul_f32_e32 v54, v13, v53
	v_mul_f32_e32 v19, v37, v53
	v_fmac_f32_e32 v54, v37, v55
	v_fmac_f32_e32 v85, 0xbf68dda4, v59
	v_fma_f32 v37, v72, s3, -v90
	v_fma_f32 v53, v13, v55, -v19
	v_fmac_f32_e32 v84, 0xbf4178ce, v36
	v_add_f32_e32 v13, v85, v2
	v_fma_f32 v19, v69, s13, -v89
	v_add_f32_e32 v37, v37, v1
	v_add_f32_e32 v13, v84, v13
	v_fmac_f32_e32 v86, 0x3e903f40, v62
	v_add_f32_e32 v19, v19, v37
	v_fma_f32 v37, v75, s20, -v91
	v_add_f32_e32 v13, v86, v13
	v_fmac_f32_e32 v87, 0x3f7d64f0, v65
	v_add_f32_e32 v19, v37, v19
	v_fma_f32 v37, v78, s12, -v92
	;; [unrolled: 4-line block ×3, first 2 shown]
	v_add_f32_e32 v13, v88, v13
	v_add_f32_e32 v19, v37, v19
	v_mul_f32_e32 v37, v13, v56
	v_mul_f32_e32 v56, v19, v56
	v_fmac_f32_e32 v58, 0xbf0a6770, v59
	v_fma_f32 v48, v72, s2, -v74
	v_fmac_f32_e32 v56, v13, v57
	v_add_f32_e32 v13, v58, v2
	v_add_f32_e32 v48, v48, v1
	v_add_f32_e32 v2, v34, v2
	v_add_f32_e32 v1, v32, v1
	v_fma_f32 v55, v19, v57, -v37
	v_fma_f32 v37, v69, s3, -v71
	v_add_f32_e32 v2, v2, v31
	v_add_f32_e32 v1, v1, v28
	v_fmac_f32_e32 v35, 0xbf68dda4, v36
	v_fma_f32 v36, v75, s12, -v77
	v_add_f32_e32 v37, v37, v48
	v_add_f32_e32 v2, v2, v25
	;; [unrolled: 1-line block ×4, first 2 shown]
	v_fma_f32 v35, v78, s13, -v80
	v_add_f32_e32 v36, v36, v37
	v_add_f32_e32 v2, v2, v23
	;; [unrolled: 1-line block ×3, first 2 shown]
	v_fmac_f32_e32 v61, 0xbf7d64f0, v62
	v_fma_f32 v19, v81, s20, -v83
	v_add_f32_e32 v35, v35, v36
	v_add_f32_e32 v2, v2, v20
	;; [unrolled: 1-line block ×3, first 2 shown]
	v_fmac_f32_e32 v64, 0xbf4178ce, v65
	v_add_f32_e32 v13, v61, v13
	v_add_f32_e32 v19, v19, v35
	s_waitcnt vmcnt(2)
	v_mul_f32_e32 v35, v49, v52
	v_add_f32_e32 v2, v2, v21
	v_add_f32_e32 v1, v1, v7
	v_fmac_f32_e32 v67, 0xbe903f40, v68
	v_add_f32_e32 v13, v64, v13
	v_mul_f32_e32 v57, v50, v52
	v_fmac_f32_e32 v35, v50, v51
	v_add_f32_e32 v2, v2, v22
	v_add_f32_e32 v1, v1, v10
	;; [unrolled: 1-line block ×3, first 2 shown]
	v_fma_f32 v57, v49, v51, -v57
	v_mul_f32_e32 v36, v19, v35
	v_add_f32_e32 v2, v2, v24
	v_add_f32_e32 v1, v1, v9
	v_fmac_f32_e32 v36, v13, v57
	v_mul_f32_e32 v13, v13, v35
	v_add_f32_e32 v2, v2, v30
	v_add_f32_e32 v1, v1, v27
	s_waitcnt vmcnt(0)
	v_mul_f32_e32 v7, v44, v47
	v_fma_f32 v35, v19, v57, -v13
	v_add_f32_e32 v13, v2, v33
	v_mul_f32_e32 v2, v45, v47
	v_add_f32_e32 v1, v1, v29
	v_fmac_f32_e32 v7, v45, v46
	s_mul_hi_u32 s3, s0, s24
	v_fma_f32 v19, v44, v46, -v2
	v_mul_f32_e32 v2, v1, v7
	v_mul_f32_e32 v7, v13, v7
	s_add_i32 s1, s3, s1
	v_fma_f32 v1, v1, v19, -v7
	v_mad_u64_u32 v[7:8], s[2:3], s10, v26, 0
	s_movk_i32 s2, 0x21e
	v_mul_u32_u24_sdwa v9, v0, s2 dst_sel:DWORD dst_unused:UNUSED_PAD src0_sel:WORD_0 src1_sel:DWORD
	s_movk_i32 s2, 0x79
	v_mul_lo_u16_sdwa v9, v9, s2 dst_sel:DWORD dst_unused:UNUSED_PAD src0_sel:WORD_1 src1_sel:DWORD
	v_sub_u16_e32 v9, v0, v9
	v_sub_u32_e32 v0, v0, v9
	v_add_u32_e32 v18, v0, v18
	v_mad_u64_u32 v[9:10], s[2:3], s8, v18, 0
	v_mov_b32_e32 v0, v8
	v_mad_u64_u32 v[11:12], s[2:3], s11, v26, v[0:1]
	s_mul_i32 s0, s0, s24
	v_mov_b32_e32 v0, v10
	v_fmac_f32_e32 v2, v13, v19
	v_mad_u64_u32 v[12:13], s[2:3], s9, v18, v[0:1]
	s_lshl_b64 s[0:1], s[0:1], 3
	s_add_u32 s2, s14, s0
	v_mov_b32_e32 v8, v11
	s_addc_u32 s3, s15, s1
	s_lshl_b64 s[0:1], s[4:5], 3
	s_add_u32 s0, s2, s0
	v_lshlrev_b64 v[7:8], 3, v[7:8]
	s_addc_u32 s1, s3, s1
	v_mov_b32_e32 v10, v12
	v_mov_b32_e32 v0, s1
	v_add_co_u32_e32 v11, vcc, s0, v7
	v_add_u32_e32 v13, 11, v18
	v_addc_co_u32_e32 v12, vcc, v0, v8, vcc
	v_lshlrev_b64 v[7:8], 3, v[9:10]
	v_mad_u64_u32 v[9:10], s[0:1], s8, v13, 0
	v_add_co_u32_e32 v7, vcc, v11, v7
	v_addc_co_u32_e32 v8, vcc, v12, v8, vcc
	v_mov_b32_e32 v0, v10
	global_store_dwordx2 v[7:8], v[1:2], off
	v_mad_u64_u32 v[0:1], s[0:1], s9, v13, v[0:1]
	v_add_u32_e32 v13, 22, v18
	v_mad_u64_u32 v[1:2], s[0:1], s8, v13, 0
	v_mov_b32_e32 v10, v0
	v_lshlrev_b64 v[7:8], 3, v[9:10]
	v_mov_b32_e32 v0, v2
	v_mad_u64_u32 v[9:10], s[0:1], s9, v13, v[0:1]
	v_add_co_u32_e32 v7, vcc, v11, v7
	v_mov_b32_e32 v2, v9
	v_addc_co_u32_e32 v8, vcc, v12, v8, vcc
	v_lshlrev_b64 v[0:1], 3, v[1:2]
	v_add_u32_e32 v2, 33, v18
	global_store_dwordx2 v[7:8], v[35:36], off
	v_mad_u64_u32 v[7:8], s[0:1], s8, v2, 0
	v_add_co_u32_e32 v0, vcc, v11, v0
	v_addc_co_u32_e32 v1, vcc, v12, v1, vcc
	global_store_dwordx2 v[0:1], v[55:56], off
	v_mov_b32_e32 v0, v8
	v_mad_u64_u32 v[0:1], s[0:1], s9, v2, v[0:1]
	v_add_u32_e32 v9, 44, v18
	v_mad_u64_u32 v[1:2], s[0:1], s8, v9, 0
	v_mov_b32_e32 v8, v0
	v_lshlrev_b64 v[7:8], 3, v[7:8]
	v_mov_b32_e32 v0, v2
	v_mad_u64_u32 v[9:10], s[0:1], s9, v9, v[0:1]
	v_add_co_u32_e32 v7, vcc, v11, v7
	v_mov_b32_e32 v2, v9
	v_addc_co_u32_e32 v8, vcc, v12, v8, vcc
	v_lshlrev_b64 v[0:1], 3, v[1:2]
	v_add_u32_e32 v2, 55, v18
	global_store_dwordx2 v[7:8], v[53:54], off
	v_mad_u64_u32 v[7:8], s[0:1], s8, v2, 0
	v_add_co_u32_e32 v0, vcc, v11, v0
	v_addc_co_u32_e32 v1, vcc, v12, v1, vcc
	global_store_dwordx2 v[0:1], v[38:39], off
	v_mov_b32_e32 v0, v8
	;; [unrolled: 18-line block ×4, first 2 shown]
	v_mad_u64_u32 v[0:1], s[0:1], s9, v2, v[0:1]
	v_add_u32_e32 v9, 0x6e, v18
	v_mad_u64_u32 v[1:2], s[0:1], s8, v9, 0
	v_mov_b32_e32 v8, v0
	v_lshlrev_b64 v[7:8], 3, v[7:8]
	v_mov_b32_e32 v0, v2
	v_mad_u64_u32 v[9:10], s[0:1], s9, v9, v[0:1]
	v_add_co_u32_e32 v7, vcc, v11, v7
	v_mov_b32_e32 v2, v9
	v_lshlrev_b64 v[0:1], 3, v[1:2]
	v_addc_co_u32_e32 v8, vcc, v12, v8, vcc
	v_add_co_u32_e32 v0, vcc, v11, v0
	v_addc_co_u32_e32 v1, vcc, v12, v1, vcc
	global_store_dwordx2 v[7:8], v[5:6], off
	global_store_dwordx2 v[0:1], v[3:4], off
.LBB0_16:
	s_endpgm
	.section	.rodata,"a",@progbits
	.p2align	6, 0x0
	.amdhsa_kernel fft_rtc_fwd_len121_factors_11_11_wgs_121_tpt_11_sp_op_CI_CI_sbcc_twdbase8_2step_dirReg
		.amdhsa_group_segment_fixed_size 0
		.amdhsa_private_segment_fixed_size 0
		.amdhsa_kernarg_size 112
		.amdhsa_user_sgpr_count 6
		.amdhsa_user_sgpr_private_segment_buffer 1
		.amdhsa_user_sgpr_dispatch_ptr 0
		.amdhsa_user_sgpr_queue_ptr 0
		.amdhsa_user_sgpr_kernarg_segment_ptr 1
		.amdhsa_user_sgpr_dispatch_id 0
		.amdhsa_user_sgpr_flat_scratch_init 0
		.amdhsa_user_sgpr_private_segment_size 0
		.amdhsa_uses_dynamic_stack 0
		.amdhsa_system_sgpr_private_segment_wavefront_offset 0
		.amdhsa_system_sgpr_workgroup_id_x 1
		.amdhsa_system_sgpr_workgroup_id_y 0
		.amdhsa_system_sgpr_workgroup_id_z 0
		.amdhsa_system_sgpr_workgroup_info 0
		.amdhsa_system_vgpr_workitem_id 0
		.amdhsa_next_free_vgpr 113
		.amdhsa_next_free_sgpr 57
		.amdhsa_reserve_vcc 1
		.amdhsa_reserve_flat_scratch 0
		.amdhsa_float_round_mode_32 0
		.amdhsa_float_round_mode_16_64 0
		.amdhsa_float_denorm_mode_32 3
		.amdhsa_float_denorm_mode_16_64 3
		.amdhsa_dx10_clamp 1
		.amdhsa_ieee_mode 1
		.amdhsa_fp16_overflow 0
		.amdhsa_exception_fp_ieee_invalid_op 0
		.amdhsa_exception_fp_denorm_src 0
		.amdhsa_exception_fp_ieee_div_zero 0
		.amdhsa_exception_fp_ieee_overflow 0
		.amdhsa_exception_fp_ieee_underflow 0
		.amdhsa_exception_fp_ieee_inexact 0
		.amdhsa_exception_int_div_zero 0
	.end_amdhsa_kernel
	.text
.Lfunc_end0:
	.size	fft_rtc_fwd_len121_factors_11_11_wgs_121_tpt_11_sp_op_CI_CI_sbcc_twdbase8_2step_dirReg, .Lfunc_end0-fft_rtc_fwd_len121_factors_11_11_wgs_121_tpt_11_sp_op_CI_CI_sbcc_twdbase8_2step_dirReg
                                        ; -- End function
	.section	.AMDGPU.csdata,"",@progbits
; Kernel info:
; codeLenInByte = 8496
; NumSgprs: 61
; NumVgprs: 113
; ScratchSize: 0
; MemoryBound: 0
; FloatMode: 240
; IeeeMode: 1
; LDSByteSize: 0 bytes/workgroup (compile time only)
; SGPRBlocks: 7
; VGPRBlocks: 28
; NumSGPRsForWavesPerEU: 61
; NumVGPRsForWavesPerEU: 113
; Occupancy: 2
; WaveLimiterHint : 1
; COMPUTE_PGM_RSRC2:SCRATCH_EN: 0
; COMPUTE_PGM_RSRC2:USER_SGPR: 6
; COMPUTE_PGM_RSRC2:TRAP_HANDLER: 0
; COMPUTE_PGM_RSRC2:TGID_X_EN: 1
; COMPUTE_PGM_RSRC2:TGID_Y_EN: 0
; COMPUTE_PGM_RSRC2:TGID_Z_EN: 0
; COMPUTE_PGM_RSRC2:TIDIG_COMP_CNT: 0
	.type	__hip_cuid_2831be7fabfa8f28,@object ; @__hip_cuid_2831be7fabfa8f28
	.section	.bss,"aw",@nobits
	.globl	__hip_cuid_2831be7fabfa8f28
__hip_cuid_2831be7fabfa8f28:
	.byte	0                               ; 0x0
	.size	__hip_cuid_2831be7fabfa8f28, 1

	.ident	"AMD clang version 19.0.0git (https://github.com/RadeonOpenCompute/llvm-project roc-6.4.0 25133 c7fe45cf4b819c5991fe208aaa96edf142730f1d)"
	.section	".note.GNU-stack","",@progbits
	.addrsig
	.addrsig_sym __hip_cuid_2831be7fabfa8f28
	.amdgpu_metadata
---
amdhsa.kernels:
  - .args:
      - .actual_access:  read_only
        .address_space:  global
        .offset:         0
        .size:           8
        .value_kind:     global_buffer
      - .address_space:  global
        .offset:         8
        .size:           8
        .value_kind:     global_buffer
      - .offset:         16
        .size:           8
        .value_kind:     by_value
      - .actual_access:  read_only
        .address_space:  global
        .offset:         24
        .size:           8
        .value_kind:     global_buffer
      - .actual_access:  read_only
        .address_space:  global
        .offset:         32
        .size:           8
        .value_kind:     global_buffer
      - .actual_access:  read_only
        .address_space:  global
        .offset:         40
        .size:           8
        .value_kind:     global_buffer
      - .offset:         48
        .size:           8
        .value_kind:     by_value
      - .actual_access:  read_only
        .address_space:  global
        .offset:         56
        .size:           8
        .value_kind:     global_buffer
      - .actual_access:  read_only
        .address_space:  global
        .offset:         64
        .size:           8
        .value_kind:     global_buffer
      - .offset:         72
        .size:           4
        .value_kind:     by_value
      - .actual_access:  read_only
        .address_space:  global
        .offset:         80
        .size:           8
        .value_kind:     global_buffer
      - .actual_access:  read_only
        .address_space:  global
        .offset:         88
        .size:           8
        .value_kind:     global_buffer
      - .actual_access:  read_only
        .address_space:  global
        .offset:         96
        .size:           8
        .value_kind:     global_buffer
      - .actual_access:  write_only
        .address_space:  global
        .offset:         104
        .size:           8
        .value_kind:     global_buffer
    .group_segment_fixed_size: 0
    .kernarg_segment_align: 8
    .kernarg_segment_size: 112
    .language:       OpenCL C
    .language_version:
      - 2
      - 0
    .max_flat_workgroup_size: 121
    .name:           fft_rtc_fwd_len121_factors_11_11_wgs_121_tpt_11_sp_op_CI_CI_sbcc_twdbase8_2step_dirReg
    .private_segment_fixed_size: 0
    .sgpr_count:     61
    .sgpr_spill_count: 0
    .symbol:         fft_rtc_fwd_len121_factors_11_11_wgs_121_tpt_11_sp_op_CI_CI_sbcc_twdbase8_2step_dirReg.kd
    .uniform_work_group_size: 1
    .uses_dynamic_stack: false
    .vgpr_count:     113
    .vgpr_spill_count: 0
    .wavefront_size: 64
amdhsa.target:   amdgcn-amd-amdhsa--gfx906
amdhsa.version:
  - 1
  - 2
...

	.end_amdgpu_metadata
